;; amdgpu-corpus repo=ROCm/rocFFT kind=compiled arch=gfx950 opt=O3
	.text
	.amdgcn_target "amdgcn-amd-amdhsa--gfx950"
	.amdhsa_code_object_version 6
	.protected	fft_rtc_fwd_len416_factors_13_2_16_wgs_64_tpt_32_dp_op_CI_CI_unitstride_sbrr_dirReg ; -- Begin function fft_rtc_fwd_len416_factors_13_2_16_wgs_64_tpt_32_dp_op_CI_CI_unitstride_sbrr_dirReg
	.globl	fft_rtc_fwd_len416_factors_13_2_16_wgs_64_tpt_32_dp_op_CI_CI_unitstride_sbrr_dirReg
	.p2align	8
	.type	fft_rtc_fwd_len416_factors_13_2_16_wgs_64_tpt_32_dp_op_CI_CI_unitstride_sbrr_dirReg,@function
fft_rtc_fwd_len416_factors_13_2_16_wgs_64_tpt_32_dp_op_CI_CI_unitstride_sbrr_dirReg: ; @fft_rtc_fwd_len416_factors_13_2_16_wgs_64_tpt_32_dp_op_CI_CI_unitstride_sbrr_dirReg
; %bb.0:
	s_load_dwordx4 s[4:7], s[0:1], 0x58
	s_load_dwordx4 s[8:11], s[0:1], 0x0
	;; [unrolled: 1-line block ×3, first 2 shown]
	v_lshrrev_b32_e32 v1, 5, v0
	v_lshl_or_b32 v6, s2, 1, v1
	v_mov_b32_e32 v4, 0
	s_waitcnt lgkmcnt(0)
	v_cmp_lt_u64_e64 s[2:3], s[10:11], 2
	v_mov_b32_e32 v7, v4
	s_and_b64 vcc, exec, s[2:3]
	v_mov_b64_e32 v[2:3], 0
	s_cbranch_vccnz .LBB0_8
; %bb.1:
	s_load_dwordx2 s[2:3], s[0:1], 0x10
	s_add_u32 s16, s14, 8
	s_addc_u32 s17, s15, 0
	s_add_u32 s18, s12, 8
	s_addc_u32 s19, s13, 0
	s_waitcnt lgkmcnt(0)
	s_add_u32 s20, s2, 8
	v_mov_b64_e32 v[2:3], 0
	s_addc_u32 s21, s3, 0
	s_mov_b64 s[22:23], 1
	v_mov_b64_e32 v[66:67], v[2:3]
.LBB0_2:                                ; =>This Inner Loop Header: Depth=1
	s_load_dwordx2 s[24:25], s[20:21], 0x0
                                        ; implicit-def: $vgpr70_vgpr71
	s_waitcnt lgkmcnt(0)
	v_or_b32_e32 v5, s25, v7
	v_cmp_ne_u64_e32 vcc, 0, v[4:5]
	s_and_saveexec_b64 s[2:3], vcc
	s_xor_b64 s[26:27], exec, s[2:3]
	s_cbranch_execz .LBB0_4
; %bb.3:                                ;   in Loop: Header=BB0_2 Depth=1
	v_cvt_f32_u32_e32 v1, s24
	v_cvt_f32_u32_e32 v5, s25
	s_sub_u32 s2, 0, s24
	s_subb_u32 s3, 0, s25
	v_fmac_f32_e32 v1, 0x4f800000, v5
	v_rcp_f32_e32 v1, v1
	s_nop 0
	v_mul_f32_e32 v1, 0x5f7ffffc, v1
	v_mul_f32_e32 v5, 0x2f800000, v1
	v_trunc_f32_e32 v5, v5
	v_fmac_f32_e32 v1, 0xcf800000, v5
	v_cvt_u32_f32_e32 v5, v5
	v_cvt_u32_f32_e32 v1, v1
	v_mul_lo_u32 v8, s2, v5
	v_mul_hi_u32 v10, s2, v1
	v_mul_lo_u32 v9, s3, v1
	v_add_u32_e32 v10, v10, v8
	v_mul_lo_u32 v12, s2, v1
	v_add_u32_e32 v13, v10, v9
	v_mul_hi_u32 v8, v1, v12
	v_mul_hi_u32 v11, v1, v13
	v_mul_lo_u32 v10, v1, v13
	v_mov_b32_e32 v9, v4
	v_lshl_add_u64 v[8:9], v[8:9], 0, v[10:11]
	v_mul_hi_u32 v11, v5, v12
	v_mul_lo_u32 v12, v5, v12
	v_add_co_u32_e32 v8, vcc, v8, v12
	v_mul_hi_u32 v10, v5, v13
	s_nop 0
	v_addc_co_u32_e32 v8, vcc, v9, v11, vcc
	v_mov_b32_e32 v9, v4
	s_nop 0
	v_addc_co_u32_e32 v11, vcc, 0, v10, vcc
	v_mul_lo_u32 v10, v5, v13
	v_lshl_add_u64 v[8:9], v[8:9], 0, v[10:11]
	v_add_co_u32_e32 v1, vcc, v1, v8
	v_mul_lo_u32 v10, s2, v1
	s_nop 0
	v_addc_co_u32_e32 v5, vcc, v5, v9, vcc
	v_mul_lo_u32 v8, s2, v5
	v_mul_hi_u32 v9, s2, v1
	v_add_u32_e32 v8, v9, v8
	v_mul_lo_u32 v9, s3, v1
	v_add_u32_e32 v12, v8, v9
	v_mul_hi_u32 v14, v5, v10
	v_mul_lo_u32 v15, v5, v10
	v_mul_hi_u32 v9, v1, v12
	v_mul_lo_u32 v8, v1, v12
	v_mul_hi_u32 v10, v1, v10
	v_mov_b32_e32 v11, v4
	v_lshl_add_u64 v[8:9], v[10:11], 0, v[8:9]
	v_add_co_u32_e32 v8, vcc, v8, v15
	v_mul_hi_u32 v13, v5, v12
	s_nop 0
	v_addc_co_u32_e32 v8, vcc, v9, v14, vcc
	v_mul_lo_u32 v10, v5, v12
	s_nop 0
	v_addc_co_u32_e32 v11, vcc, 0, v13, vcc
	v_mov_b32_e32 v9, v4
	v_lshl_add_u64 v[8:9], v[8:9], 0, v[10:11]
	v_add_co_u32_e32 v1, vcc, v1, v8
	v_mul_hi_u32 v10, v6, v1
	s_nop 0
	v_addc_co_u32_e32 v5, vcc, v5, v9, vcc
	v_mad_u64_u32 v[8:9], s[2:3], v6, v5, 0
	v_mov_b32_e32 v11, v4
	v_lshl_add_u64 v[8:9], v[10:11], 0, v[8:9]
	v_mad_u64_u32 v[12:13], s[2:3], v7, v1, 0
	v_add_co_u32_e32 v1, vcc, v8, v12
	v_mad_u64_u32 v[10:11], s[2:3], v7, v5, 0
	s_nop 0
	v_addc_co_u32_e32 v8, vcc, v9, v13, vcc
	v_mov_b32_e32 v9, v4
	s_nop 0
	v_addc_co_u32_e32 v11, vcc, 0, v11, vcc
	v_lshl_add_u64 v[8:9], v[8:9], 0, v[10:11]
	v_mul_lo_u32 v1, s25, v8
	v_mul_lo_u32 v5, s24, v9
	v_mad_u64_u32 v[10:11], s[2:3], s24, v8, 0
	v_add3_u32 v1, v11, v5, v1
	v_sub_u32_e32 v5, v7, v1
	v_mov_b32_e32 v11, s25
	v_sub_co_u32_e32 v14, vcc, v6, v10
	v_lshl_add_u64 v[12:13], v[8:9], 0, 1
	s_nop 0
	v_subb_co_u32_e64 v5, s[2:3], v5, v11, vcc
	v_subrev_co_u32_e64 v10, s[2:3], s24, v14
	v_subb_co_u32_e32 v1, vcc, v7, v1, vcc
	s_nop 0
	v_subbrev_co_u32_e64 v5, s[2:3], 0, v5, s[2:3]
	v_cmp_le_u32_e64 s[2:3], s25, v5
	v_cmp_le_u32_e32 vcc, s25, v1
	s_nop 0
	v_cndmask_b32_e64 v11, 0, -1, s[2:3]
	v_cmp_le_u32_e64 s[2:3], s24, v10
	s_nop 1
	v_cndmask_b32_e64 v10, 0, -1, s[2:3]
	v_cmp_eq_u32_e64 s[2:3], s25, v5
	s_nop 1
	v_cndmask_b32_e64 v5, v11, v10, s[2:3]
	v_lshl_add_u64 v[10:11], v[8:9], 0, 2
	v_cmp_ne_u32_e64 s[2:3], 0, v5
	s_nop 1
	v_cndmask_b32_e64 v5, v13, v11, s[2:3]
	v_cndmask_b32_e64 v11, 0, -1, vcc
	v_cmp_le_u32_e32 vcc, s24, v14
	s_nop 1
	v_cndmask_b32_e64 v13, 0, -1, vcc
	v_cmp_eq_u32_e32 vcc, s25, v1
	s_nop 1
	v_cndmask_b32_e32 v1, v11, v13, vcc
	v_cmp_ne_u32_e32 vcc, 0, v1
	v_cndmask_b32_e64 v1, v12, v10, s[2:3]
	s_nop 0
	v_cndmask_b32_e32 v71, v9, v5, vcc
	v_cndmask_b32_e32 v70, v8, v1, vcc
.LBB0_4:                                ;   in Loop: Header=BB0_2 Depth=1
	s_andn2_saveexec_b64 s[2:3], s[26:27]
	s_cbranch_execz .LBB0_6
; %bb.5:                                ;   in Loop: Header=BB0_2 Depth=1
	v_cvt_f32_u32_e32 v1, s24
	s_sub_i32 s26, 0, s24
	v_mov_b32_e32 v71, v4
	v_rcp_iflag_f32_e32 v1, v1
	s_nop 0
	v_mul_f32_e32 v1, 0x4f7ffffe, v1
	v_cvt_u32_f32_e32 v1, v1
	v_mul_lo_u32 v5, s26, v1
	v_mul_hi_u32 v5, v1, v5
	v_add_u32_e32 v1, v1, v5
	v_mul_hi_u32 v1, v6, v1
	v_mul_lo_u32 v5, v1, s24
	v_sub_u32_e32 v5, v6, v5
	v_add_u32_e32 v8, 1, v1
	v_subrev_u32_e32 v9, s24, v5
	v_cmp_le_u32_e32 vcc, s24, v5
	s_nop 1
	v_cndmask_b32_e32 v5, v5, v9, vcc
	v_cndmask_b32_e32 v1, v1, v8, vcc
	v_add_u32_e32 v8, 1, v1
	v_cmp_le_u32_e32 vcc, s24, v5
	s_nop 1
	v_cndmask_b32_e32 v70, v1, v8, vcc
.LBB0_6:                                ;   in Loop: Header=BB0_2 Depth=1
	s_or_b64 exec, exec, s[2:3]
	v_mad_u64_u32 v[8:9], s[2:3], v70, s24, 0
	s_load_dwordx2 s[2:3], s[18:19], 0x0
	v_mul_lo_u32 v1, v71, s24
	v_mul_lo_u32 v5, v70, s25
	s_load_dwordx2 s[24:25], s[16:17], 0x0
	s_add_u32 s22, s22, 1
	v_add3_u32 v1, v9, v5, v1
	v_sub_co_u32_e32 v5, vcc, v6, v8
	s_addc_u32 s23, s23, 0
	s_nop 0
	v_subb_co_u32_e32 v1, vcc, v7, v1, vcc
	s_add_u32 s16, s16, 8
	s_waitcnt lgkmcnt(0)
	v_mul_lo_u32 v6, s2, v1
	v_mul_lo_u32 v7, s3, v5
	v_mad_u64_u32 v[2:3], s[2:3], s2, v5, v[2:3]
	s_addc_u32 s17, s17, 0
	v_add3_u32 v3, v7, v3, v6
	v_mul_lo_u32 v1, s24, v1
	v_mul_lo_u32 v6, s25, v5
	v_mad_u64_u32 v[66:67], s[2:3], s24, v5, v[66:67]
	s_add_u32 s18, s18, 8
	v_add3_u32 v67, v6, v67, v1
	s_addc_u32 s19, s19, 0
	v_mov_b64_e32 v[6:7], s[10:11]
	s_add_u32 s20, s20, 8
	v_cmp_ge_u64_e32 vcc, s[22:23], v[6:7]
	s_addc_u32 s21, s21, 0
	s_cbranch_vccnz .LBB0_9
; %bb.7:                                ;   in Loop: Header=BB0_2 Depth=1
	v_mov_b64_e32 v[6:7], v[70:71]
	s_branch .LBB0_2
.LBB0_8:
	v_mov_b64_e32 v[66:67], v[2:3]
	v_mov_b64_e32 v[70:71], v[6:7]
.LBB0_9:
	s_load_dwordx2 s[0:1], s[0:1], 0x28
	s_lshl_b64 s[10:11], s[10:11], 3
	s_add_u32 s2, s14, s10
	s_addc_u32 s3, s15, s11
	v_and_b32_e32 v68, 31, v0
	s_waitcnt lgkmcnt(0)
	v_cmp_gt_u64_e32 vcc, s[0:1], v[70:71]
	v_cmp_le_u64_e64 s[0:1], s[0:1], v[70:71]
                                        ; implicit-def: $vgpr84
                                        ; implicit-def: $vgpr83
                                        ; implicit-def: $vgpr82
                                        ; implicit-def: $vgpr81
                                        ; implicit-def: $vgpr80
                                        ; implicit-def: $vgpr69
	s_and_saveexec_b64 s[14:15], s[0:1]
	s_xor_b64 s[0:1], exec, s[14:15]
; %bb.10:
	v_and_b32_e32 v68, 31, v0
	v_or_b32_e32 v84, 32, v68
	v_or_b32_e32 v83, 64, v68
	;; [unrolled: 1-line block ×6, first 2 shown]
                                        ; implicit-def: $vgpr2_vgpr3
; %bb.11:
	s_or_saveexec_b64 s[0:1], s[0:1]
                                        ; implicit-def: $vgpr48_vgpr49
                                        ; implicit-def: $vgpr40_vgpr41
                                        ; implicit-def: $vgpr32_vgpr33
                                        ; implicit-def: $vgpr28_vgpr29
                                        ; implicit-def: $vgpr20_vgpr21
                                        ; implicit-def: $vgpr16_vgpr17
                                        ; implicit-def: $vgpr24_vgpr25
                                        ; implicit-def: $vgpr44_vgpr45
                                        ; implicit-def: $vgpr52_vgpr53
                                        ; implicit-def: $vgpr56_vgpr57
                                        ; implicit-def: $vgpr36_vgpr37
                                        ; implicit-def: $vgpr12_vgpr13
                                        ; implicit-def: $vgpr8_vgpr9
	s_xor_b64 exec, exec, s[0:1]
	s_cbranch_execz .LBB0_13
; %bb.12:
	s_add_u32 s10, s12, s10
	s_addc_u32 s11, s13, s11
	s_load_dwordx2 s[10:11], s[10:11], 0x0
	v_lshlrev_b32_e32 v4, 4, v68
	v_or_b32_e32 v84, 32, v68
	v_or_b32_e32 v83, 64, v68
	;; [unrolled: 1-line block ×3, first 2 shown]
	s_waitcnt lgkmcnt(0)
	v_mul_lo_u32 v1, s11, v70
	v_mul_lo_u32 v5, s10, v71
	v_mad_u64_u32 v[6:7], s[10:11], s10, v70, 0
	v_add3_u32 v7, v7, v5, v1
	v_lshl_add_u64 v[6:7], v[6:7], 4, s[4:5]
	v_lshl_add_u64 v[2:3], v[2:3], 4, v[6:7]
	v_mov_b32_e32 v5, 0
	v_lshl_add_u64 v[22:23], v[2:3], 0, v[4:5]
	global_load_dwordx4 v[6:9], v[22:23], off
	global_load_dwordx4 v[46:49], v[22:23], off offset:512
	global_load_dwordx4 v[38:41], v[22:23], off offset:1024
	;; [unrolled: 1-line block ×7, first 2 shown]
	v_or_b32_e32 v22, 0x1000, v4
	v_mov_b32_e32 v23, v5
	v_lshl_add_u64 v[42:43], v[2:3], 0, v[22:23]
	v_or_b32_e32 v22, 0x1200, v4
	v_lshl_add_u64 v[44:45], v[2:3], 0, v[22:23]
	global_load_dwordx4 v[22:25], v[42:43], off
	global_load_dwordx4 v[34:37], v[44:45], off
	v_or_b32_e32 v42, 0x1400, v4
	v_mov_b32_e32 v43, v5
	v_lshl_add_u64 v[58:59], v[2:3], 0, v[42:43]
	v_or_b32_e32 v42, 0x1600, v4
	v_or_b32_e32 v4, 0x1800, v4
	v_lshl_add_u64 v[60:61], v[2:3], 0, v[42:43]
	v_lshl_add_u64 v[2:3], v[2:3], 0, v[4:5]
	global_load_dwordx4 v[42:45], v[58:59], off
	global_load_dwordx4 v[50:53], v[60:61], off
	;; [unrolled: 1-line block ×3, first 2 shown]
	v_or_b32_e32 v81, 0x80, v68
	v_or_b32_e32 v80, 0xa0, v68
	v_or_b32_e32 v69, 0xc0, v68
.LBB0_13:
	s_or_b64 exec, exec, s[0:1]
	s_waitcnt vmcnt(11)
	v_add_f64 v[2:3], v[46:47], v[6:7]
	v_add_f64 v[4:5], v[48:49], v[8:9]
	s_waitcnt vmcnt(10)
	v_add_f64 v[2:3], v[38:39], v[2:3]
	v_add_f64 v[4:5], v[40:41], v[4:5]
	s_waitcnt vmcnt(9)
	v_add_f64 v[2:3], v[30:31], v[2:3]
	v_add_f64 v[4:5], v[32:33], v[4:5]
	s_waitcnt vmcnt(8)
	v_add_f64 v[2:3], v[26:27], v[2:3]
	v_add_f64 v[4:5], v[28:29], v[4:5]
	s_waitcnt vmcnt(7)
	v_add_f64 v[2:3], v[18:19], v[2:3]
	v_add_f64 v[4:5], v[20:21], v[4:5]
	s_waitcnt vmcnt(6)
	v_add_f64 v[2:3], v[10:11], v[2:3]
	v_add_f64 v[4:5], v[12:13], v[4:5]
	s_waitcnt vmcnt(5)
	v_add_f64 v[2:3], v[14:15], v[2:3]
	v_add_f64 v[4:5], v[16:17], v[4:5]
	s_waitcnt vmcnt(4)
	v_add_f64 v[2:3], v[22:23], v[2:3]
	v_add_f64 v[4:5], v[24:25], v[4:5]
	s_waitcnt vmcnt(3)
	v_add_f64 v[2:3], v[34:35], v[2:3]
	v_add_f64 v[4:5], v[36:37], v[4:5]
	s_waitcnt vmcnt(2)
	v_add_f64 v[2:3], v[42:43], v[2:3]
	v_add_f64 v[4:5], v[44:45], v[4:5]
	s_mov_b32 s4, 0xe00740e9
	s_mov_b32 s0, 0x1ea71119
	;; [unrolled: 1-line block ×6, first 2 shown]
	s_waitcnt vmcnt(1)
	v_add_f64 v[2:3], v[50:51], v[2:3]
	v_add_f64 v[4:5], v[52:53], v[4:5]
	s_waitcnt vmcnt(0)
	v_add_f64 v[62:63], v[46:47], v[54:55]
	s_mov_b32 s5, 0x3fec55a7
	s_mov_b32 s16, 0x4267c47c
	;; [unrolled: 1-line block ×12, first 2 shown]
	v_add_f64 v[2:3], v[54:55], v[2:3]
	v_add_f64 v[4:5], v[56:57], v[4:5]
	v_add_f64 v[58:59], v[48:49], v[56:57]
	v_add_f64 v[60:61], v[46:47], -v[54:55]
	v_add_f64 v[56:57], v[48:49], -v[56:57]
	v_add_f64 v[54:55], v[38:39], v[50:51]
	v_add_f64 v[46:47], v[40:41], v[52:53]
	v_add_f64 v[48:49], v[38:39], -v[50:51]
	v_add_f64 v[38:39], v[40:41], -v[52:53]
	v_add_f64 v[50:51], v[30:31], v[42:43]
	v_add_f64 v[40:41], v[32:33], v[44:45]
	;; [unrolled: 4-line block ×3, first 2 shown]
	v_add_f64 v[34:35], v[26:27], -v[34:35]
	v_add_f64 v[26:27], v[28:29], -v[36:37]
	v_add_f64 v[52:53], v[18:19], v[22:23]
	v_add_f64 v[36:37], v[18:19], -v[22:23]
	v_add_f64 v[74:75], v[14:15], v[10:11]
	v_add_f64 v[72:73], v[10:11], -v[14:15]
	v_mul_f64 v[10:11], v[62:63], s[4:5]
	s_mov_b32 s17, 0x3fddbe06
	s_mov_b32 s31, 0xbfddbe06
	;; [unrolled: 1-line block ×6, first 2 shown]
	v_mul_f64 v[14:15], v[62:63], s[0:1]
	s_mov_b32 s13, 0x3fefc445
	s_mov_b32 s25, 0xbfefc445
	s_mov_b32 s24, s12
	v_mul_f64 v[18:19], v[62:63], s[10:11]
	s_mov_b32 s35, 0x3fedeba7
	s_mov_b32 s21, 0xbfedeba7
	s_mov_b32 s20, s34
	;; [unrolled: 4-line block ×3, first 2 shown]
	v_mul_f64 v[86:87], v[62:63], s[22:23]
	v_mul_f64 v[90:91], v[62:63], s[38:39]
	s_mov_b32 s41, 0x3fcea1e5
	s_mov_b32 s43, 0xbfcea1e5
	;; [unrolled: 1-line block ×3, first 2 shown]
	v_add_f64 v[28:29], v[20:21], v[24:25]
	v_add_f64 v[22:23], v[20:21], -v[24:25]
	v_add_f64 v[24:25], v[16:17], v[12:13]
	v_add_f64 v[64:65], v[12:13], -v[16:17]
	v_fma_f64 v[12:13], s[16:17], v[56:57], v[10:11]
	v_fmac_f64_e32 v[10:11], s[30:31], v[56:57]
	v_fma_f64 v[16:17], s[14:15], v[56:57], v[14:15]
	v_fmac_f64_e32 v[14:15], s[28:29], v[56:57]
	;; [unrolled: 2-line block ×6, first 2 shown]
	v_mul_f64 v[56:57], v[60:61], s[30:31]
	v_mul_f64 v[94:95], v[60:61], s[28:29]
	;; [unrolled: 1-line block ×6, first 2 shown]
	v_fma_f64 v[92:93], s[4:5], v[58:59], v[56:57]
	v_fma_f64 v[56:57], v[58:59], s[4:5], -v[56:57]
	v_fma_f64 v[96:97], s[0:1], v[58:59], v[94:95]
	v_fma_f64 v[94:95], v[58:59], s[0:1], -v[94:95]
	;; [unrolled: 2-line block ×6, first 2 shown]
	v_add_f64 v[12:13], v[12:13], v[6:7]
	v_add_f64 v[114:115], v[10:11], v[6:7]
	;; [unrolled: 1-line block ×12, first 2 shown]
	v_mul_f64 v[6:7], v[54:55], s[0:1]
	v_add_f64 v[92:93], v[92:93], v[8:9]
	v_add_f64 v[116:117], v[56:57], v[8:9]
	;; [unrolled: 1-line block ×12, first 2 shown]
	v_fma_f64 v[8:9], s[14:15], v[38:39], v[6:7]
	v_mul_f64 v[18:19], v[48:49], s[28:29]
	v_mul_f64 v[20:21], v[50:51], s[10:11]
	v_add_f64 v[8:9], v[8:9], v[12:13]
	v_fma_f64 v[10:11], s[0:1], v[46:47], v[18:19]
	v_fma_f64 v[12:13], s[12:13], v[30:31], v[20:21]
	v_mul_f64 v[86:87], v[42:43], s[24:25]
	v_add_f64 v[10:11], v[10:11], v[92:93]
	v_add_f64 v[8:9], v[12:13], v[8:9]
	v_fma_f64 v[12:13], s[10:11], v[40:41], v[86:87]
	v_mul_f64 v[88:89], v[44:45], s[18:19]
	v_add_f64 v[10:11], v[12:13], v[10:11]
	v_fma_f64 v[12:13], s[34:35], v[26:27], v[88:89]
	v_mul_f64 v[90:91], v[34:35], s[20:21]
	;; [unrolled: 3-line block ×3, first 2 shown]
	v_fmac_f64_e32 v[6:7], s[28:29], v[38:39]
	v_add_f64 v[10:11], v[12:13], v[10:11]
	v_fma_f64 v[12:13], s[36:37], v[22:23], v[92:93]
	v_mul_f64 v[106:107], v[36:37], s[26:27]
	v_add_f64 v[6:7], v[6:7], v[114:115]
	v_fma_f64 v[18:19], v[46:47], s[0:1], -v[18:19]
	v_fmac_f64_e32 v[20:21], s[24:25], v[30:31]
	v_add_f64 v[8:9], v[12:13], v[8:9]
	v_fma_f64 v[12:13], s[22:23], v[28:29], v[106:107]
	v_mul_f64 v[110:111], v[74:75], s[38:39]
	v_add_f64 v[18:19], v[18:19], v[116:117]
	v_add_f64 v[6:7], v[20:21], v[6:7]
	v_fma_f64 v[20:21], v[40:41], s[10:11], -v[86:87]
	v_add_f64 v[12:13], v[12:13], v[10:11]
	v_fma_f64 v[10:11], s[40:41], v[64:65], v[110:111]
	v_add_f64 v[18:19], v[20:21], v[18:19]
	v_fma_f64 v[20:21], v[32:33], s[18:19], -v[90:91]
	v_add_f64 v[10:11], v[10:11], v[8:9]
	v_mul_f64 v[8:9], v[72:73], s[42:43]
	v_add_f64 v[18:19], v[20:21], v[18:19]
	v_fma_f64 v[20:21], v[28:29], s[22:23], -v[106:107]
	v_fma_f64 v[112:113], s[38:39], v[24:25], v[8:9]
	v_fmac_f64_e32 v[88:89], s[20:21], v[26:27]
	v_add_f64 v[18:19], v[20:21], v[18:19]
	v_fma_f64 v[8:9], v[24:25], s[38:39], -v[8:9]
	v_mul_f64 v[86:87], v[54:55], s[18:19]
	v_add_f64 v[6:7], v[88:89], v[6:7]
	v_fmac_f64_e32 v[92:93], s[26:27], v[22:23]
	v_add_f64 v[8:9], v[8:9], v[18:19]
	v_fma_f64 v[18:19], s[34:35], v[38:39], v[86:87]
	v_mul_f64 v[88:89], v[48:49], s[20:21]
	v_mul_f64 v[90:91], v[50:51], s[38:39]
	v_add_f64 v[6:7], v[92:93], v[6:7]
	v_add_f64 v[16:17], v[18:19], v[16:17]
	v_fma_f64 v[18:19], s[18:19], v[46:47], v[88:89]
	v_fma_f64 v[20:21], s[40:41], v[30:31], v[90:91]
	v_mul_f64 v[92:93], v[42:43], s[42:43]
	v_add_f64 v[18:19], v[18:19], v[96:97]
	v_add_f64 v[16:17], v[20:21], v[16:17]
	v_fma_f64 v[20:21], s[38:39], v[40:41], v[92:93]
	v_mul_f64 v[96:97], v[44:45], s[22:23]
	v_fmac_f64_e32 v[110:111], s[42:43], v[64:65]
	v_add_f64 v[18:19], v[20:21], v[18:19]
	v_fma_f64 v[20:21], s[26:27], v[26:27], v[96:97]
	v_mul_f64 v[106:107], v[34:35], s[36:37]
	v_add_f64 v[6:7], v[110:111], v[6:7]
	v_add_f64 v[16:17], v[20:21], v[16:17]
	v_fma_f64 v[20:21], s[22:23], v[32:33], v[106:107]
	v_mul_f64 v[110:111], v[52:53], s[10:11]
	v_fmac_f64_e32 v[86:87], s[20:21], v[38:39]
	v_add_f64 v[12:13], v[112:113], v[12:13]
	v_add_f64 v[18:19], v[20:21], v[18:19]
	v_fma_f64 v[20:21], s[24:25], v[22:23], v[110:111]
	v_mul_f64 v[112:113], v[36:37], s[12:13]
	v_add_f64 v[14:15], v[86:87], v[14:15]
	v_fma_f64 v[86:87], v[46:47], s[18:19], -v[88:89]
	v_add_f64 v[16:17], v[20:21], v[16:17]
	v_fma_f64 v[20:21], s[10:11], v[28:29], v[112:113]
	v_mul_f64 v[114:115], v[74:75], s[4:5]
	v_add_f64 v[86:87], v[86:87], v[94:95]
	v_fma_f64 v[88:89], v[40:41], s[38:39], -v[92:93]
	v_add_f64 v[20:21], v[20:21], v[18:19]
	v_fma_f64 v[18:19], s[30:31], v[64:65], v[114:115]
	v_add_f64 v[86:87], v[88:89], v[86:87]
	v_fma_f64 v[88:89], v[32:33], s[22:23], -v[106:107]
	v_add_f64 v[18:19], v[18:19], v[16:17]
	v_mul_f64 v[16:17], v[72:73], s[16:17]
	v_fmac_f64_e32 v[90:91], s[42:43], v[30:31]
	v_add_f64 v[86:87], v[88:89], v[86:87]
	v_fma_f64 v[88:89], v[28:29], s[10:11], -v[112:113]
	v_fma_f64 v[116:117], s[4:5], v[24:25], v[16:17]
	v_add_f64 v[14:15], v[90:91], v[14:15]
	v_add_f64 v[86:87], v[88:89], v[86:87]
	v_fma_f64 v[16:17], v[24:25], s[4:5], -v[16:17]
	v_mul_f64 v[90:91], v[54:55], s[38:39]
	v_fmac_f64_e32 v[96:97], s[36:37], v[26:27]
	v_add_f64 v[16:17], v[16:17], v[86:87]
	v_fma_f64 v[86:87], s[40:41], v[38:39], v[90:91]
	v_mul_f64 v[94:95], v[50:51], s[18:19]
	v_add_f64 v[14:15], v[96:97], v[14:15]
	v_add_f64 v[86:87], v[86:87], v[118:119]
	v_mul_f64 v[92:93], v[48:49], s[42:43]
	v_fma_f64 v[96:97], s[20:21], v[30:31], v[94:95]
	v_fma_f64 v[88:89], s[38:39], v[46:47], v[92:93]
	v_add_f64 v[86:87], v[96:97], v[86:87]
	v_mul_f64 v[96:97], v[42:43], s[34:35]
	v_add_f64 v[88:89], v[88:89], v[100:101]
	v_fma_f64 v[100:101], s[18:19], v[40:41], v[96:97]
	v_add_f64 v[88:89], v[100:101], v[88:89]
	v_mul_f64 v[100:101], v[44:45], s[4:5]
	v_fma_f64 v[106:107], s[30:31], v[26:27], v[100:101]
	v_fmac_f64_e32 v[110:111], s[12:13], v[22:23]
	v_add_f64 v[86:87], v[106:107], v[86:87]
	v_mul_f64 v[106:107], v[34:35], s[16:17]
	v_add_f64 v[14:15], v[110:111], v[14:15]
	v_fma_f64 v[110:111], s[4:5], v[32:33], v[106:107]
	v_add_f64 v[88:89], v[110:111], v[88:89]
	v_mul_f64 v[110:111], v[52:53], s[0:1]
	v_fma_f64 v[112:113], s[14:15], v[22:23], v[110:111]
	v_fmac_f64_e32 v[114:115], s[16:17], v[64:65]
	v_add_f64 v[86:87], v[112:113], v[86:87]
	v_mul_f64 v[112:113], v[36:37], s[28:29]
	v_fmac_f64_e32 v[90:91], s[42:43], v[38:39]
	v_add_f64 v[14:15], v[114:115], v[14:15]
	v_fma_f64 v[114:115], s[0:1], v[28:29], v[112:113]
	v_add_f64 v[90:91], v[90:91], v[120:121]
	v_fma_f64 v[92:93], v[46:47], s[38:39], -v[92:93]
	v_fmac_f64_e32 v[94:95], s[34:35], v[30:31]
	v_add_f64 v[88:89], v[114:115], v[88:89]
	v_mul_f64 v[114:115], v[74:75], s[22:23]
	v_add_f64 v[92:93], v[92:93], v[98:99]
	v_add_f64 v[90:91], v[94:95], v[90:91]
	v_fma_f64 v[94:95], v[40:41], s[18:19], -v[96:97]
	v_add_f64 v[20:21], v[116:117], v[20:21]
	v_fma_f64 v[116:117], s[36:37], v[64:65], v[114:115]
	v_add_f64 v[92:93], v[94:95], v[92:93]
	v_fmac_f64_e32 v[100:101], s[16:17], v[26:27]
	v_fma_f64 v[94:95], v[32:33], s[4:5], -v[106:107]
	v_add_f64 v[86:87], v[116:117], v[86:87]
	v_mul_f64 v[116:117], v[72:73], s[26:27]
	v_add_f64 v[90:91], v[100:101], v[90:91]
	v_add_f64 v[92:93], v[94:95], v[92:93]
	v_fma_f64 v[94:95], v[28:29], s[0:1], -v[112:113]
	v_mul_f64 v[100:101], v[48:49], s[36:37]
	v_add_f64 v[92:93], v[94:95], v[92:93]
	v_fma_f64 v[94:95], v[24:25], s[22:23], -v[116:117]
	v_mul_f64 v[98:99], v[54:55], s[22:23]
	v_fma_f64 v[96:97], s[22:23], v[46:47], v[100:101]
	v_add_f64 v[92:93], v[94:95], v[92:93]
	v_fma_f64 v[94:95], s[26:27], v[38:39], v[98:99]
	v_add_f64 v[96:97], v[96:97], v[104:105]
	v_mul_f64 v[104:105], v[50:51], s[4:5]
	v_add_f64 v[94:95], v[94:95], v[122:123]
	v_fma_f64 v[106:107], s[30:31], v[30:31], v[104:105]
	v_fmac_f64_e32 v[110:111], s[28:29], v[22:23]
	v_add_f64 v[94:95], v[106:107], v[94:95]
	v_mul_f64 v[106:107], v[42:43], s[16:17]
	v_add_f64 v[90:91], v[110:111], v[90:91]
	v_fma_f64 v[110:111], s[4:5], v[40:41], v[106:107]
	v_add_f64 v[96:97], v[110:111], v[96:97]
	v_mul_f64 v[110:111], v[44:45], s[10:11]
	v_fma_f64 v[112:113], s[12:13], v[26:27], v[110:111]
	v_fmac_f64_e32 v[114:115], s[26:27], v[64:65]
	v_add_f64 v[94:95], v[112:113], v[94:95]
	v_mul_f64 v[112:113], v[34:35], s[24:25]
	v_add_f64 v[90:91], v[114:115], v[90:91]
	v_fma_f64 v[114:115], s[10:11], v[32:33], v[112:113]
	v_add_f64 v[96:97], v[114:115], v[96:97]
	v_mul_f64 v[114:115], v[52:53], s[38:39]
	v_fma_f64 v[118:119], s[22:23], v[24:25], v[116:117]
	v_fma_f64 v[116:117], s[42:43], v[22:23], v[114:115]
	v_add_f64 v[94:95], v[116:117], v[94:95]
	v_mul_f64 v[116:117], v[36:37], s[40:41]
	v_add_f64 v[88:89], v[118:119], v[88:89]
	v_fma_f64 v[118:119], s[38:39], v[28:29], v[116:117]
	v_fmac_f64_e32 v[98:99], s[36:37], v[38:39]
	v_fma_f64 v[100:101], v[46:47], s[22:23], -v[100:101]
	v_add_f64 v[96:97], v[118:119], v[96:97]
	v_mul_f64 v[118:119], v[74:75], s[0:1]
	v_add_f64 v[98:99], v[98:99], v[124:125]
	v_add_f64 v[100:101], v[100:101], v[102:103]
	v_fmac_f64_e32 v[104:105], s[16:17], v[30:31]
	v_fma_f64 v[102:103], v[40:41], s[4:5], -v[106:107]
	v_fma_f64 v[120:121], s[28:29], v[64:65], v[118:119]
	v_add_f64 v[98:99], v[104:105], v[98:99]
	v_add_f64 v[100:101], v[102:103], v[100:101]
	v_fmac_f64_e32 v[110:111], s[24:25], v[26:27]
	v_fma_f64 v[102:103], v[32:33], s[10:11], -v[112:113]
	v_add_f64 v[94:95], v[120:121], v[94:95]
	v_mul_f64 v[120:121], v[72:73], s[14:15]
	v_add_f64 v[98:99], v[110:111], v[98:99]
	v_add_f64 v[100:101], v[102:103], v[100:101]
	v_fma_f64 v[102:103], v[28:29], s[38:39], -v[116:117]
	v_mul_f64 v[110:111], v[48:49], s[12:13]
	v_add_f64 v[100:101], v[102:103], v[100:101]
	v_fma_f64 v[102:103], v[24:25], s[0:1], -v[120:121]
	v_mul_f64 v[106:107], v[54:55], s[10:11]
	v_fma_f64 v[104:105], s[10:11], v[46:47], v[110:111]
	v_add_f64 v[100:101], v[102:103], v[100:101]
	v_fma_f64 v[102:103], s[24:25], v[38:39], v[106:107]
	v_add_f64 v[104:105], v[104:105], v[108:109]
	v_mul_f64 v[108:109], v[50:51], s[0:1]
	v_add_f64 v[102:103], v[102:103], v[126:127]
	v_fma_f64 v[112:113], s[14:15], v[30:31], v[108:109]
	v_fmac_f64_e32 v[114:115], s[40:41], v[22:23]
	v_add_f64 v[102:103], v[112:113], v[102:103]
	v_mul_f64 v[112:113], v[42:43], s[28:29]
	v_add_f64 v[98:99], v[114:115], v[98:99]
	v_fma_f64 v[114:115], s[0:1], v[40:41], v[112:113]
	v_add_f64 v[104:105], v[114:115], v[104:105]
	v_mul_f64 v[114:115], v[44:45], s[38:39]
	v_fma_f64 v[116:117], s[42:43], v[26:27], v[114:115]
	v_fmac_f64_e32 v[118:119], s[14:15], v[64:65]
	v_add_f64 v[102:103], v[116:117], v[102:103]
	v_mul_f64 v[116:117], v[34:35], s[40:41]
	v_add_f64 v[98:99], v[118:119], v[98:99]
	v_fma_f64 v[118:119], s[38:39], v[32:33], v[116:117]
	v_add_f64 v[104:105], v[118:119], v[104:105]
	v_mul_f64 v[118:119], v[52:53], s[4:5]
	v_fma_f64 v[122:123], s[0:1], v[24:25], v[120:121]
	v_fma_f64 v[120:121], s[30:31], v[22:23], v[118:119]
	v_add_f64 v[102:103], v[120:121], v[102:103]
	v_mul_f64 v[120:121], v[36:37], s[16:17]
	v_fmac_f64_e32 v[106:107], s[12:13], v[38:39]
	v_add_f64 v[96:97], v[122:123], v[96:97]
	v_fma_f64 v[122:123], s[4:5], v[28:29], v[120:121]
	v_add_f64 v[78:79], v[106:107], v[78:79]
	v_fma_f64 v[106:107], v[46:47], s[10:11], -v[110:111]
	v_fmac_f64_e32 v[108:109], s[28:29], v[30:31]
	v_add_f64 v[104:105], v[122:123], v[104:105]
	v_mul_f64 v[122:123], v[74:75], s[18:19]
	v_add_f64 v[76:77], v[106:107], v[76:77]
	v_add_f64 v[78:79], v[108:109], v[78:79]
	v_fma_f64 v[106:107], v[40:41], s[0:1], -v[112:113]
	v_fmac_f64_e32 v[114:115], s[40:41], v[26:27]
	v_fma_f64 v[124:125], s[34:35], v[64:65], v[122:123]
	v_add_f64 v[76:77], v[106:107], v[76:77]
	v_add_f64 v[78:79], v[114:115], v[78:79]
	v_fma_f64 v[106:107], v[32:33], s[38:39], -v[116:117]
	v_fmac_f64_e32 v[118:119], s[16:17], v[22:23]
	v_add_f64 v[102:103], v[124:125], v[102:103]
	v_mul_f64 v[124:125], v[72:73], s[20:21]
	v_add_f64 v[76:77], v[106:107], v[76:77]
	v_add_f64 v[78:79], v[118:119], v[78:79]
	v_fma_f64 v[106:107], v[28:29], s[4:5], -v[120:121]
	v_fmac_f64_e32 v[122:123], s[20:21], v[64:65]
	v_add_f64 v[106:107], v[106:107], v[76:77]
	v_add_f64 v[76:77], v[122:123], v[78:79]
	v_fma_f64 v[78:79], v[24:25], s[18:19], -v[124:125]
	v_mul_f64 v[54:55], v[54:55], s[4:5]
	v_add_f64 v[78:79], v[78:79], v[106:107]
	v_fma_f64 v[106:107], s[30:31], v[38:39], v[54:55]
	v_mul_f64 v[48:49], v[48:49], s[16:17]
	v_add_f64 v[62:63], v[106:107], v[62:63]
	v_fma_f64 v[106:107], s[4:5], v[46:47], v[48:49]
	;; [unrolled: 3-line block ×5, first 2 shown]
	v_add_f64 v[62:63], v[106:107], v[62:63]
	v_mul_f64 v[106:107], v[34:35], s[14:15]
	v_fma_f64 v[34:35], s[0:1], v[32:33], v[106:107]
	v_mul_f64 v[52:53], v[52:53], s[18:19]
	v_add_f64 v[34:35], v[34:35], v[60:61]
	v_fma_f64 v[60:61], s[34:35], v[22:23], v[52:53]
	v_fmac_f64_e32 v[54:55], s[16:17], v[38:39]
	v_add_f64 v[60:61], v[60:61], v[62:63]
	v_mul_f64 v[62:63], v[36:37], s[20:21]
	v_add_f64 v[38:39], v[54:55], v[58:59]
	v_fma_f64 v[46:47], v[46:47], s[4:5], -v[48:49]
	v_fmac_f64_e32 v[50:51], s[26:27], v[30:31]
	v_fma_f64 v[36:37], s[18:19], v[28:29], v[62:63]
	v_mul_f64 v[74:75], v[74:75], s[10:11]
	v_add_f64 v[46:47], v[46:47], v[56:57]
	v_add_f64 v[30:31], v[50:51], v[38:39]
	v_fma_f64 v[38:39], v[40:41], s[22:23], -v[42:43]
	v_fmac_f64_e32 v[44:45], s[14:15], v[26:27]
	v_and_b32_e32 v0, 32, v0
	v_add_f64 v[36:37], v[36:37], v[34:35]
	v_fma_f64 v[34:35], s[24:25], v[64:65], v[74:75]
	v_add_f64 v[38:39], v[38:39], v[46:47]
	v_add_f64 v[26:27], v[44:45], v[30:31]
	v_fma_f64 v[30:31], v[32:33], s[0:1], -v[106:107]
	v_fmac_f64_e32 v[52:53], s[20:21], v[22:23]
	v_mov_b32_e32 v1, 0x1a0
	v_cmp_ne_u32_e64 s[0:1], 0, v0
	v_add_f64 v[34:35], v[34:35], v[60:61]
	v_mul_f64 v[60:61], v[72:73], s[12:13]
	v_add_f64 v[30:31], v[30:31], v[38:39]
	v_add_f64 v[22:23], v[52:53], v[26:27]
	v_fma_f64 v[26:27], v[28:29], s[18:19], -v[62:63]
	v_cndmask_b32_e64 v54, 0, v1, s[0:1]
	v_add_f64 v[26:27], v[26:27], v[30:31]
	v_fma_f64 v[0:1], v[24:25], s[10:11], -v[60:61]
	v_lshl_add_u32 v38, v54, 4, 0
	s_movk_i32 s0, 0xd0
	v_fma_f64 v[126:127], s[18:19], v[24:25], v[124:125]
	v_fma_f64 v[72:73], s[10:11], v[24:25], v[60:61]
	v_fmac_f64_e32 v[74:75], s[12:13], v[64:65]
	v_add_f64 v[24:25], v[0:1], v[26:27]
	v_mad_u32_u24 v0, v68, s0, v38
	s_movk_i32 s0, 0xff40
	v_add_f64 v[104:105], v[126:127], v[104:105]
	v_add_f64 v[36:37], v[72:73], v[36:37]
	s_load_dwordx2 s[4:5], s[2:3], 0x0
	v_add_f64 v[22:23], v[74:75], v[22:23]
	ds_write_b128 v0, v[2:5]
	ds_write_b128 v0, v[10:13] offset:16
	ds_write_b128 v0, v[18:21] offset:32
	;; [unrolled: 1-line block ×12, first 2 shown]
	v_lshl_add_u32 v59, v68, 4, v38
	v_mad_i32_i24 v58, v68, s0, v0
	v_lshl_add_u32 v5, v83, 4, v38
	s_waitcnt lgkmcnt(0)
	; wave barrier
	s_waitcnt lgkmcnt(0)
	ds_read_b128 v[0:3], v59
	ds_read_b128 v[50:53], v58 offset:3328
	ds_read_b128 v[10:13], v58 offset:3840
	;; [unrolled: 1-line block ×3, first 2 shown]
	v_lshl_add_u32 v22, v82, 4, v38
	ds_read_b128 v[14:17], v5
	ds_read_b128 v[26:29], v22
	v_lshl_add_u32 v5, v81, 4, v38
	v_lshl_add_u32 v34, v80, 4, v38
	;; [unrolled: 1-line block ×3, first 2 shown]
	ds_read_b128 v[22:25], v58 offset:4864
	ds_read_b128 v[30:33], v58 offset:5376
	ds_read_b128 v[46:49], v5
	ds_read_b128 v[38:41], v34
	;; [unrolled: 1-line block ×3, first 2 shown]
	ds_read_b128 v[34:37], v58 offset:5888
	s_movk_i32 s10, 0x1a0
	v_cmp_gt_u32_e64 s[0:1], 16, v68
	v_lshlrev_b32_e32 v60, 4, v54
                                        ; implicit-def: $vgpr56_vgpr57
	s_and_saveexec_b64 s[2:3], s[0:1]
	s_cbranch_execz .LBB0_15
; %bb.14:
	v_lshlrev_b32_e32 v4, 4, v69
	v_add3_u32 v4, 0, v4, v60
	ds_read_b128 v[6:9], v4
	ds_read_b128 v[54:57], v58 offset:6400
.LBB0_15:
	s_or_b64 exec, exec, s[2:3]
	s_movk_i32 s2, 0x4f
	v_mul_lo_u16_sdwa v4, v68, s2 dst_sel:DWORD dst_unused:UNUSED_PAD src0_sel:BYTE_0 src1_sel:DWORD
	v_lshrrev_b16_e32 v63, 10, v4
	v_mul_lo_u16_e32 v4, 13, v63
	v_sub_u16_e32 v4, v68, v4
	v_mov_b32_e32 v5, 4
	v_lshlrev_b32_sdwa v108, v5, v4 dst_sel:DWORD dst_unused:UNUSED_PAD src0_sel:DWORD src1_sel:BYTE_0
	v_mul_lo_u16_sdwa v4, v84, s2 dst_sel:DWORD dst_unused:UNUSED_PAD src0_sel:BYTE_0 src1_sel:DWORD
	v_lshrrev_b16_e32 v109, 10, v4
	v_mul_lo_u16_e32 v4, 13, v109
	v_sub_u16_e32 v4, v84, v4
	v_lshlrev_b32_sdwa v110, v5, v4 dst_sel:DWORD dst_unused:UNUSED_PAD src0_sel:DWORD src1_sel:BYTE_0
	v_mul_lo_u16_sdwa v4, v83, s2 dst_sel:DWORD dst_unused:UNUSED_PAD src0_sel:BYTE_0 src1_sel:DWORD
	v_lshrrev_b16_e32 v111, 10, v4
	v_mul_lo_u16_e32 v4, 13, v111
	v_sub_u16_e32 v4, v83, v4
	;; [unrolled: 5-line block ×5, first 2 shown]
	v_lshlrev_b32_sdwa v118, v5, v4 dst_sel:DWORD dst_unused:UNUSED_PAD src0_sel:DWORD src1_sel:BYTE_0
	v_mul_lo_u16_sdwa v4, v69, s2 dst_sel:DWORD dst_unused:UNUSED_PAD src0_sel:BYTE_0 src1_sel:DWORD
	v_lshrrev_b16_e32 v61, 10, v4
	v_mul_lo_u16_e32 v4, 13, v61
	global_load_dwordx4 v[72:75], v108, s[8:9]
	global_load_dwordx4 v[76:79], v110, s[8:9]
	;; [unrolled: 1-line block ×4, first 2 shown]
	v_sub_u16_e32 v4, v69, v4
	global_load_dwordx4 v[90:93], v116, s[8:9]
	global_load_dwordx4 v[94:97], v118, s[8:9]
	v_lshlrev_b32_sdwa v62, v5, v4 dst_sel:DWORD dst_unused:UNUSED_PAD src0_sel:DWORD src1_sel:BYTE_0
	global_load_dwordx4 v[98:101], v62, s[8:9]
	s_waitcnt lgkmcnt(0)
	; wave barrier
	s_waitcnt vmcnt(6) lgkmcnt(0)
	v_mul_f64 v[4:5], v[52:53], v[74:75]
	v_mul_f64 v[64:65], v[50:51], v[74:75]
	s_waitcnt vmcnt(5)
	v_mul_f64 v[74:75], v[12:13], v[78:79]
	s_waitcnt vmcnt(3)
	v_mul_f64 v[102:103], v[24:25], v[88:89]
	v_mul_f64 v[88:89], v[22:23], v[88:89]
	s_waitcnt vmcnt(2)
	v_mul_f64 v[104:105], v[32:33], v[92:93]
	v_mul_f64 v[92:93], v[30:31], v[92:93]
	;; [unrolled: 1-line block ×3, first 2 shown]
	s_waitcnt vmcnt(1)
	v_mul_f64 v[106:107], v[36:37], v[96:97]
	v_fma_f64 v[4:5], v[50:51], v[72:73], -v[4:5]
	v_fmac_f64_e32 v[64:65], v[52:53], v[72:73]
	v_mul_f64 v[72:73], v[34:35], v[96:97]
	v_fma_f64 v[52:53], v[10:11], v[76:77], -v[74:75]
	v_fma_f64 v[74:75], v[22:23], v[86:87], -v[102:103]
	v_fmac_f64_e32 v[88:89], v[24:25], v[86:87]
	v_fma_f64 v[30:31], v[30:31], v[90:91], -v[104:105]
	v_fmac_f64_e32 v[92:93], v[32:33], v[90:91]
	v_mul_f64 v[80:81], v[20:21], v[84:85]
	s_waitcnt vmcnt(0)
	v_mul_f64 v[50:51], v[56:57], v[100:101]
	v_mul_f64 v[96:97], v[54:55], v[100:101]
	v_fmac_f64_e32 v[78:79], v[12:13], v[76:77]
	v_fma_f64 v[76:77], v[34:35], v[94:95], -v[106:107]
	v_fmac_f64_e32 v[72:73], v[36:37], v[94:95]
	v_add_f64 v[34:35], v[26:27], -v[74:75]
	v_add_f64 v[36:37], v[28:29], -v[88:89]
	;; [unrolled: 1-line block ×4, first 2 shown]
	v_mul_f64 v[84:85], v[18:19], v[84:85]
	v_fma_f64 v[18:19], v[18:19], v[82:83], -v[80:81]
	v_fma_f64 v[80:81], v[54:55], v[98:99], -v[50:51]
	v_fmac_f64_e32 v[96:97], v[56:57], v[98:99]
	v_add_f64 v[22:23], v[42:43], -v[52:53]
	v_fma_f64 v[50:51], v[26:27], 2.0, -v[34:35]
	v_fma_f64 v[52:53], v[28:29], 2.0, -v[36:37]
	;; [unrolled: 1-line block ×4, first 2 shown]
	v_add_f64 v[46:47], v[38:39], -v[76:77]
	v_add_f64 v[48:49], v[40:41], -v[72:73]
	v_fma_f64 v[54:55], v[38:39], 2.0, -v[46:47]
	v_fma_f64 v[56:57], v[40:41], 2.0, -v[48:49]
	v_add_f64 v[38:39], v[6:7], -v[80:81]
	v_add_f64 v[40:41], v[8:9], -v[96:97]
	v_add_f64 v[10:11], v[0:1], -v[4:5]
	v_add_f64 v[12:13], v[2:3], -v[64:65]
	v_fma_f64 v[4:5], v[6:7], 2.0, -v[38:39]
	v_fma_f64 v[6:7], v[8:9], 2.0, -v[40:41]
	v_mad_u32_u24 v8, v63, s10, 0
	v_fma_f64 v[0:1], v[0:1], 2.0, -v[10:11]
	v_fma_f64 v[2:3], v[2:3], 2.0, -v[12:13]
	v_add3_u32 v8, v8, v108, v60
	v_add_f64 v[24:25], v[44:45], -v[78:79]
	ds_write_b128 v8, v[0:3]
	ds_write_b128 v8, v[10:13] offset:208
	v_mad_u32_u24 v8, v109, s10, 0
	v_fmac_f64_e32 v[84:85], v[20:21], v[82:83]
	v_fma_f64 v[42:43], v[42:43], 2.0, -v[22:23]
	v_fma_f64 v[44:45], v[44:45], 2.0, -v[24:25]
	v_add3_u32 v8, v8, v110, v60
	v_add_f64 v[18:19], v[14:15], -v[18:19]
	v_add_f64 v[20:21], v[16:17], -v[84:85]
	ds_write_b128 v8, v[42:45]
	ds_write_b128 v8, v[22:25] offset:208
	v_mad_u32_u24 v8, v111, s10, 0
	v_fma_f64 v[14:15], v[14:15], 2.0, -v[18:19]
	v_fma_f64 v[16:17], v[16:17], 2.0, -v[20:21]
	v_add3_u32 v8, v8, v112, v60
	ds_write_b128 v8, v[14:17]
	ds_write_b128 v8, v[18:21] offset:208
	v_mad_u32_u24 v8, v113, s10, 0
	v_add3_u32 v8, v8, v114, v60
	ds_write_b128 v8, v[50:53]
	ds_write_b128 v8, v[34:37] offset:208
	v_mad_u32_u24 v8, v115, s10, 0
	v_add3_u32 v8, v8, v116, v60
	ds_write_b128 v8, v[26:29]
	ds_write_b128 v8, v[30:33] offset:208
	v_mad_u32_u24 v8, v117, s10, 0
	v_add3_u32 v8, v8, v118, v60
	ds_write_b128 v8, v[54:57]
	ds_write_b128 v8, v[46:49] offset:208
	s_and_saveexec_b64 s[2:3], s[0:1]
	s_cbranch_execz .LBB0_17
; %bb.16:
	s_movk_i32 s0, 0x1a0
	v_mad_u32_u24 v8, v61, s0, 0
	v_add3_u32 v8, v8, v62, v60
	ds_write_b128 v8, v[4:7]
	ds_write_b128 v8, v[38:41] offset:208
.LBB0_17:
	s_or_b64 exec, exec, s[2:3]
	v_cmp_gt_u32_e64 s[0:1], 26, v68
	s_waitcnt lgkmcnt(0)
	; wave barrier
	s_waitcnt lgkmcnt(0)
                                        ; implicit-def: $vgpr64_vgpr65
                                        ; implicit-def: $vgpr60_vgpr61
	s_and_saveexec_b64 s[2:3], s[0:1]
	s_cbranch_execz .LBB0_19
; %bb.18:
	ds_read_b128 v[0:3], v59
	ds_read_b128 v[10:13], v58 offset:416
	ds_read_b128 v[42:45], v58 offset:832
	;; [unrolled: 1-line block ×15, first 2 shown]
.LBB0_19:
	s_or_b64 exec, exec, s[2:3]
	v_cmp_gt_u32_e64 s[2:3], 26, v68
	s_and_b64 s[2:3], vcc, s[2:3]
	s_and_saveexec_b64 s[10:11], s[2:3]
	s_cbranch_execz .LBB0_21
; %bb.20:
	v_subrev_u32_e32 v8, 26, v68
	v_cndmask_b32_e64 v8, v8, v68, s[0:1]
	v_mul_i32_i24_e32 v72, 15, v8
	v_mov_b32_e32 v73, 0
	v_lshl_add_u64 v[8:9], v[72:73], 4, s[8:9]
	global_load_dwordx4 v[74:77], v[8:9], off offset:224
	global_load_dwordx4 v[78:81], v[8:9], off offset:352
	;; [unrolled: 1-line block ×10, first 2 shown]
	s_mov_b32 s3, 0xbfe6a09e
	s_mov_b32 s10, 0xcf328d46
	s_mov_b32 s9, 0xbfd87de2
	s_mov_b32 s11, 0x3fed906b
	s_mov_b32 s13, 0xbfed906b
	s_mov_b32 s12, s10
	v_mov_b32_e32 v69, v73
	s_waitcnt vmcnt(9) lgkmcnt(13)
	v_mul_f64 v[114:115], v[44:45], v[76:77]
	v_mul_f64 v[118:119], v[42:43], v[76:77]
	v_fma_f64 v[120:121], v[42:43], v[74:75], -v[114:115]
	s_waitcnt vmcnt(8) lgkmcnt(5)
	v_mul_f64 v[42:43], v[56:57], v[80:81]
	v_fmac_f64_e32 v[118:119], v[44:45], v[74:75]
	global_load_dwordx4 v[74:77], v[8:9], off offset:304
	v_mul_f64 v[44:45], v[54:55], v[80:81]
	v_fma_f64 v[122:123], v[54:55], v[78:79], -v[42:43]
	s_waitcnt vmcnt(8)
	v_mul_f64 v[124:125], v[52:53], v[82:83]
	v_mul_f64 v[42:43], v[52:53], v[84:85]
	global_load_dwordx4 v[114:117], v[8:9], off offset:320
	v_fmac_f64_e32 v[44:45], v[56:57], v[78:79]
	global_load_dwordx4 v[54:57], v[8:9], off offset:272
	v_fmac_f64_e32 v[124:125], v[50:51], v[84:85]
	v_fma_f64 v[82:83], v[50:51], v[82:83], -v[42:43]
	global_load_dwordx4 v[50:53], v[8:9], off offset:400
	global_load_dwordx4 v[78:81], v[8:9], off offset:432
	v_mul_lo_u32 v8, s5, v70
	v_mul_lo_u32 v9, s4, v71
	v_mad_u64_u32 v[42:43], s[0:1], s4, v70, 0
	v_add3_u32 v43, v43, v9, v8
	s_waitcnt vmcnt(11) lgkmcnt(1)
	v_mul_f64 v[8:9], v[64:65], v[86:87]
	v_mul_f64 v[64:65], v[64:65], v[88:89]
	v_fmac_f64_e32 v[8:9], v[62:63], v[88:89]
	v_fma_f64 v[62:63], v[62:63], v[86:87], -v[64:65]
	s_waitcnt vmcnt(9)
	v_mul_f64 v[84:85], v[24:25], v[96:97]
	v_mul_f64 v[86:87], v[22:23], v[96:97]
	v_fma_f64 v[22:23], v[22:23], v[94:95], -v[84:85]
	v_fmac_f64_e32 v[86:87], v[24:25], v[94:95]
	s_waitcnt vmcnt(6)
	v_mul_f64 v[94:95], v[46:47], v[108:109]
	v_mul_f64 v[84:85], v[12:13], v[100:101]
	;; [unrolled: 1-line block ×3, first 2 shown]
	v_fmac_f64_e32 v[94:95], v[48:49], v[106:107]
	s_waitcnt vmcnt(5)
	v_mul_f64 v[48:49], v[32:33], v[112:113]
	v_fma_f64 v[84:85], v[10:11], v[98:99], -v[84:85]
	v_mul_f64 v[64:65], v[16:17], v[92:93]
	v_mul_f64 v[70:71], v[6:7], v[104:105]
	v_fma_f64 v[46:47], v[46:47], v[106:107], -v[88:89]
	v_fma_f64 v[64:65], v[14:15], v[90:91], -v[64:65]
	;; [unrolled: 1-line block ×3, first 2 shown]
	v_mul_f64 v[14:15], v[14:15], v[92:93]
	v_mul_f64 v[4:5], v[4:5], v[104:105]
	v_fmac_f64_e32 v[14:15], v[16:17], v[90:91]
	v_fmac_f64_e32 v[4:5], v[6:7], v[102:103]
	v_add_f64 v[4:5], v[14:15], -v[4:5]
	v_add_f64 v[62:63], v[82:83], -v[62:63]
	;; [unrolled: 1-line block ×4, first 2 shown]
	v_fma_f64 v[16:17], v[82:83], 2.0, -v[62:63]
	s_mov_b32 s0, 0x667f3bcd
	v_add_f64 v[44:45], v[118:119], -v[44:45]
	v_add_f64 v[46:47], v[22:23], -v[46:47]
	v_fma_f64 v[86:87], v[86:87], 2.0, -v[94:95]
	s_mov_b32 s1, 0x3fe6a09e
	s_mov_b32 s2, s0
	;; [unrolled: 1-line block ×5, first 2 shown]
	s_waitcnt vmcnt(4)
	v_mul_f64 v[96:97], v[36:37], v[74:75]
	v_mul_f64 v[36:37], v[36:37], v[76:77]
	v_fmac_f64_e32 v[96:97], v[34:35], v[76:77]
	v_fma_f64 v[34:35], v[34:35], v[74:75], -v[36:37]
	v_mul_f64 v[76:77], v[10:11], v[100:101]
	v_fma_f64 v[10:11], v[30:31], v[110:111], -v[48:49]
	v_fmac_f64_e32 v[76:77], v[12:13], v[98:99]
	s_waitcnt vmcnt(3)
	v_mul_f64 v[24:25], v[28:29], v[114:115]
	s_waitcnt vmcnt(2)
	v_mul_f64 v[88:89], v[20:21], v[54:55]
	v_fmac_f64_e32 v[24:25], v[26:27], v[116:117]
	s_waitcnt vmcnt(0) lgkmcnt(0)
	v_mul_f64 v[74:75], v[60:61], v[78:79]
	v_mul_f64 v[60:61], v[60:61], v[80:81]
	v_fma_f64 v[48:49], v[58:59], v[78:79], -v[60:61]
	v_add_f64 v[60:61], v[124:125], -v[8:9]
	v_mul_f64 v[8:9], v[30:31], v[112:113]
	v_fmac_f64_e32 v[8:9], v[32:33], v[110:111]
	v_add_f64 v[32:33], v[76:77], -v[8:9]
	v_mul_f64 v[8:9], v[20:21], v[56:57]
	v_fmac_f64_e32 v[88:89], v[18:19], v[56:57]
	v_add_f64 v[78:79], v[84:85], -v[10:11]
	v_fma_f64 v[18:19], v[18:19], v[54:55], -v[8:9]
	v_mul_f64 v[8:9], v[40:41], v[52:53]
	v_mul_f64 v[10:11], v[28:29], v[116:117]
	v_add_f64 v[24:25], v[2:3], -v[24:25]
	v_fma_f64 v[8:9], v[38:39], v[50:51], -v[8:9]
	v_fma_f64 v[10:11], v[26:27], v[114:115], -v[10:11]
	v_mul_f64 v[36:37], v[40:41], v[50:51]
	v_fmac_f64_e32 v[74:75], v[58:59], v[80:81]
	v_add_f64 v[20:21], v[18:19], -v[8:9]
	v_add_f64 v[26:27], v[0:1], -v[10:11]
	v_fma_f64 v[28:29], v[2:3], 2.0, -v[24:25]
	v_fma_f64 v[2:3], v[14:15], 2.0, -v[4:5]
	v_fmac_f64_e32 v[36:37], v[38:39], v[52:53]
	v_add_f64 v[74:75], v[96:97], -v[74:75]
	v_add_f64 v[50:51], v[26:27], -v[4:5]
	;; [unrolled: 1-line block ×3, first 2 shown]
	v_fma_f64 v[82:83], v[84:85], 2.0, -v[78:79]
	v_fma_f64 v[2:3], v[18:19], 2.0, -v[20:21]
	v_add_f64 v[36:37], v[88:89], -v[36:37]
	v_add_f64 v[48:49], v[34:35], -v[48:49]
	;; [unrolled: 1-line block ×3, first 2 shown]
	v_fma_f64 v[2:3], v[96:97], 2.0, -v[74:75]
	v_fma_f64 v[92:93], v[0:1], 2.0, -v[26:27]
	v_fma_f64 v[0:1], v[64:65], 2.0, -v[70:71]
	v_add_f64 v[58:59], v[120:121], -v[122:123]
	v_add_f64 v[98:99], v[44:45], v[62:63]
	v_add_f64 v[100:101], v[70:71], v[24:25]
	v_add_f64 v[122:123], v[46:47], -v[74:75]
	v_add_f64 v[30:31], v[94:95], v[48:49]
	v_add_f64 v[38:39], v[32:33], v[20:21]
	v_add_f64 v[74:75], v[86:87], -v[2:3]
	v_fma_f64 v[76:77], v[76:77], 2.0, -v[32:33]
	v_fma_f64 v[2:3], v[88:89], 2.0, -v[36:37]
	v_add_f64 v[64:65], v[92:93], -v[0:1]
	v_fma_f64 v[70:71], v[118:119], 2.0, -v[44:45]
	v_fma_f64 v[0:1], v[124:125], 2.0, -v[60:61]
	v_add_f64 v[80:81], v[58:59], -v[60:61]
	v_add_f64 v[106:107], v[78:79], -v[36:37]
	v_fma_f64 v[108:109], s[0:1], v[98:99], v[100:101]
	v_fma_f64 v[40:41], s[0:1], v[30:31], v[38:39]
	v_add_f64 v[88:89], v[76:77], -v[2:3]
	v_fma_f64 v[36:37], v[22:23], 2.0, -v[46:47]
	v_fma_f64 v[2:3], v[34:35], 2.0, -v[48:49]
	v_add_f64 v[60:61], v[70:71], -v[0:1]
	v_fmac_f64_e32 v[108:109], s[0:1], v[80:81]
	v_fma_f64 v[126:127], s[0:1], v[122:123], v[106:107]
	v_fmac_f64_e32 v[40:41], s[0:1], v[122:123]
	v_add_f64 v[34:35], v[36:37], -v[2:3]
	v_fma_f64 v[104:105], v[26:27], 2.0, -v[50:51]
	v_fma_f64 v[112:113], v[28:29], 2.0, -v[4:5]
	;; [unrolled: 1-line block ×3, first 2 shown]
	v_fmac_f64_e32 v[126:127], s[2:3], v[30:31]
	v_fma_f64 v[52:53], s[0:1], v[80:81], v[50:51]
	v_fma_f64 v[54:55], v[120:121], 2.0, -v[58:59]
	v_add_f64 v[48:49], v[88:89], v[34:35]
	v_add_f64 v[96:97], v[64:65], -v[60:61]
	v_fma_f64 v[18:19], v[58:59], 2.0, -v[80:81]
	v_fma_f64 v[58:59], v[24:25], 2.0, -v[100:101]
	;; [unrolled: 1-line block ×4, first 2 shown]
	v_add_f64 v[60:61], v[112:113], -v[26:27]
	v_fma_f64 v[26:27], v[36:37], 2.0, -v[34:35]
	v_fma_f64 v[34:35], v[100:101], 2.0, -v[108:109]
	;; [unrolled: 1-line block ×3, first 2 shown]
	v_fmac_f64_e32 v[52:53], s[2:3], v[98:99]
	v_fma_f64 v[22:23], v[44:45], 2.0, -v[98:99]
	v_fma_f64 v[44:45], v[106:107], 2.0, -v[126:127]
	v_fma_f64 v[36:37], s[8:9], v[38:39], v[34:35]
	v_fma_f64 v[6:7], s[10:11], v[126:127], v[52:53]
	v_add_f64 v[56:57], v[54:55], -v[16:17]
	v_add_f64 v[90:91], v[84:85], -v[74:75]
	v_fma_f64 v[20:21], v[46:47], 2.0, -v[122:123]
	v_fmac_f64_e32 v[36:37], s[10:11], v[44:45]
	v_fma_f64 v[46:47], v[50:51], 2.0, -v[52:53]
	v_fma_f64 v[8:9], s[10:11], v[40:41], v[108:109]
	v_fmac_f64_e32 v[6:7], s[8:9], v[40:41]
	v_add_f64 v[62:63], v[56:57], v[4:5]
	v_fma_f64 v[0:1], s[0:1], v[90:91], v[96:97]
	v_fma_f64 v[40:41], v[34:35], 2.0, -v[36:37]
	v_fma_f64 v[34:35], s[8:9], v[44:45], v[46:47]
	v_fma_f64 v[2:3], s[0:1], v[48:49], v[62:63]
	v_fmac_f64_e32 v[0:1], s[2:3], v[48:49]
	v_fmac_f64_e32 v[34:35], s[12:13], v[38:39]
	v_fma_f64 v[4:5], v[4:5], 2.0, -v[62:63]
	v_fma_f64 v[48:49], v[88:89], 2.0, -v[48:49]
	;; [unrolled: 1-line block ×4, first 2 shown]
	v_fma_f64 v[46:47], s[2:3], v[48:49], v[4:5]
	v_fmac_f64_e32 v[46:47], s[0:1], v[44:45]
	v_fma_f64 v[50:51], v[4:5], 2.0, -v[46:47]
	v_fma_f64 v[4:5], v[64:65], 2.0, -v[96:97]
	v_fma_f64 v[80:81], s[2:3], v[22:23], v[58:59]
	v_fma_f64 v[78:79], v[78:79], 2.0, -v[106:107]
	v_fma_f64 v[102:103], s[2:3], v[24:25], v[94:95]
	v_fma_f64 v[44:45], s[2:3], v[44:45], v[4:5]
	v_fmac_f64_e32 v[80:81], s[0:1], v[18:19]
	v_fma_f64 v[98:99], s[2:3], v[20:21], v[78:79]
	v_fmac_f64_e32 v[102:103], s[0:1], v[20:21]
	v_fma_f64 v[70:71], v[82:83], 2.0, -v[84:85]
	v_fmac_f64_e32 v[44:45], s[2:3], v[48:49]
	v_fmac_f64_e32 v[98:99], s[2:3], v[24:25]
	v_add_f64 v[82:83], v[70:71], -v[26:27]
	v_fma_f64 v[26:27], v[54:55], 2.0, -v[56:57]
	v_fma_f64 v[48:49], v[4:5], 2.0, -v[44:45]
	;; [unrolled: 1-line block ×5, first 2 shown]
	v_fma_f64 v[110:111], s[2:3], v[18:19], v[104:105]
	v_fma_f64 v[52:53], v[78:79], 2.0, -v[98:99]
	v_fma_f64 v[54:55], s[12:13], v[56:57], v[4:5]
	v_fmac_f64_e32 v[110:111], s[2:3], v[22:23]
	v_fmac_f64_e32 v[54:55], s[4:5], v[52:53]
	v_fma_f64 v[92:93], v[92:93], 2.0, -v[64:65]
	v_fma_f64 v[58:59], v[4:5], 2.0, -v[54:55]
	;; [unrolled: 1-line block ×3, first 2 shown]
	v_add_f64 v[114:115], v[92:93], -v[26:27]
	v_fma_f64 v[76:77], v[76:77], 2.0, -v[88:89]
	v_fma_f64 v[26:27], v[86:87], 2.0, -v[74:75]
	v_fma_f64 v[52:53], s[12:13], v[52:53], v[4:5]
	v_add_f64 v[28:29], v[60:61], v[82:83]
	v_add_f64 v[74:75], v[76:77], -v[26:27]
	v_fmac_f64_e32 v[52:53], s[8:9], v[56:57]
	v_fmac_f64_e32 v[2:3], s[0:1], v[90:91]
	v_fma_f64 v[32:33], v[60:61], 2.0, -v[28:29]
	v_fma_f64 v[56:57], v[4:5], 2.0, -v[52:53]
	;; [unrolled: 1-line block ×5, first 2 shown]
	v_add_f64 v[62:63], v[4:5], -v[60:61]
	v_fma_f64 v[76:77], v[4:5], 2.0, -v[62:63]
	v_fma_f64 v[4:5], v[92:93], 2.0, -v[114:115]
	;; [unrolled: 1-line block ×3, first 2 shown]
	v_add_f64 v[60:61], v[4:5], -v[60:61]
	v_add_f64 v[26:27], v[114:115], -v[74:75]
	v_fma_f64 v[74:75], v[4:5], 2.0, -v[60:61]
	v_lshl_add_u64 v[4:5], v[42:43], 4, s[6:7]
	v_fma_f64 v[20:21], s[4:5], v[102:103], v[80:81]
	v_fma_f64 v[18:19], s[4:5], v[98:99], v[110:111]
	v_lshl_add_u64 v[4:5], v[66:67], 4, v[4:5]
	v_fmac_f64_e32 v[8:9], s[4:5], v[126:127]
	v_fmac_f64_e32 v[20:21], s[10:11], v[98:99]
	;; [unrolled: 1-line block ×3, first 2 shown]
	v_lshl_add_u64 v[4:5], v[68:69], 4, v[4:5]
	s_movk_i32 s0, 0x1000
	v_fma_f64 v[12:13], v[108:109], 2.0, -v[8:9]
	v_fma_f64 v[14:15], v[96:97], 2.0, -v[0:1]
	;; [unrolled: 1-line block ×5, first 2 shown]
	global_store_dwordx4 v[4:5], v[74:77], off
	global_store_dwordx4 v[4:5], v[56:59], off offset:416
	global_store_dwordx4 v[4:5], v[48:51], off offset:832
	;; [unrolled: 1-line block ×9, first 2 shown]
	v_add_co_u32_e32 v4, vcc, s0, v4
	s_nop 1
	v_addc_co_u32_e32 v5, vcc, 0, v5, vcc
	global_store_dwordx4 v[4:5], v[44:47], off offset:64
	global_store_dwordx4 v[4:5], v[34:37], off offset:480
	;; [unrolled: 1-line block ×6, first 2 shown]
.LBB0_21:
	s_endpgm
	.section	.rodata,"a",@progbits
	.p2align	6, 0x0
	.amdhsa_kernel fft_rtc_fwd_len416_factors_13_2_16_wgs_64_tpt_32_dp_op_CI_CI_unitstride_sbrr_dirReg
		.amdhsa_group_segment_fixed_size 0
		.amdhsa_private_segment_fixed_size 0
		.amdhsa_kernarg_size 104
		.amdhsa_user_sgpr_count 2
		.amdhsa_user_sgpr_dispatch_ptr 0
		.amdhsa_user_sgpr_queue_ptr 0
		.amdhsa_user_sgpr_kernarg_segment_ptr 1
		.amdhsa_user_sgpr_dispatch_id 0
		.amdhsa_user_sgpr_kernarg_preload_length 0
		.amdhsa_user_sgpr_kernarg_preload_offset 0
		.amdhsa_user_sgpr_private_segment_size 0
		.amdhsa_uses_dynamic_stack 0
		.amdhsa_enable_private_segment 0
		.amdhsa_system_sgpr_workgroup_id_x 1
		.amdhsa_system_sgpr_workgroup_id_y 0
		.amdhsa_system_sgpr_workgroup_id_z 0
		.amdhsa_system_sgpr_workgroup_info 0
		.amdhsa_system_vgpr_workitem_id 0
		.amdhsa_next_free_vgpr 128
		.amdhsa_next_free_sgpr 44
		.amdhsa_accum_offset 128
		.amdhsa_reserve_vcc 1
		.amdhsa_float_round_mode_32 0
		.amdhsa_float_round_mode_16_64 0
		.amdhsa_float_denorm_mode_32 3
		.amdhsa_float_denorm_mode_16_64 3
		.amdhsa_dx10_clamp 1
		.amdhsa_ieee_mode 1
		.amdhsa_fp16_overflow 0
		.amdhsa_tg_split 0
		.amdhsa_exception_fp_ieee_invalid_op 0
		.amdhsa_exception_fp_denorm_src 0
		.amdhsa_exception_fp_ieee_div_zero 0
		.amdhsa_exception_fp_ieee_overflow 0
		.amdhsa_exception_fp_ieee_underflow 0
		.amdhsa_exception_fp_ieee_inexact 0
		.amdhsa_exception_int_div_zero 0
	.end_amdhsa_kernel
	.text
.Lfunc_end0:
	.size	fft_rtc_fwd_len416_factors_13_2_16_wgs_64_tpt_32_dp_op_CI_CI_unitstride_sbrr_dirReg, .Lfunc_end0-fft_rtc_fwd_len416_factors_13_2_16_wgs_64_tpt_32_dp_op_CI_CI_unitstride_sbrr_dirReg
                                        ; -- End function
	.section	.AMDGPU.csdata,"",@progbits
; Kernel info:
; codeLenInByte = 8516
; NumSgprs: 50
; NumVgprs: 128
; NumAgprs: 0
; TotalNumVgprs: 128
; ScratchSize: 0
; MemoryBound: 1
; FloatMode: 240
; IeeeMode: 1
; LDSByteSize: 0 bytes/workgroup (compile time only)
; SGPRBlocks: 6
; VGPRBlocks: 15
; NumSGPRsForWavesPerEU: 50
; NumVGPRsForWavesPerEU: 128
; AccumOffset: 128
; Occupancy: 4
; WaveLimiterHint : 1
; COMPUTE_PGM_RSRC2:SCRATCH_EN: 0
; COMPUTE_PGM_RSRC2:USER_SGPR: 2
; COMPUTE_PGM_RSRC2:TRAP_HANDLER: 0
; COMPUTE_PGM_RSRC2:TGID_X_EN: 1
; COMPUTE_PGM_RSRC2:TGID_Y_EN: 0
; COMPUTE_PGM_RSRC2:TGID_Z_EN: 0
; COMPUTE_PGM_RSRC2:TIDIG_COMP_CNT: 0
; COMPUTE_PGM_RSRC3_GFX90A:ACCUM_OFFSET: 31
; COMPUTE_PGM_RSRC3_GFX90A:TG_SPLIT: 0
	.text
	.p2alignl 6, 3212836864
	.fill 256, 4, 3212836864
	.type	__hip_cuid_2ec1ac54232d1c27,@object ; @__hip_cuid_2ec1ac54232d1c27
	.section	.bss,"aw",@nobits
	.globl	__hip_cuid_2ec1ac54232d1c27
__hip_cuid_2ec1ac54232d1c27:
	.byte	0                               ; 0x0
	.size	__hip_cuid_2ec1ac54232d1c27, 1

	.ident	"AMD clang version 19.0.0git (https://github.com/RadeonOpenCompute/llvm-project roc-6.4.0 25133 c7fe45cf4b819c5991fe208aaa96edf142730f1d)"
	.section	".note.GNU-stack","",@progbits
	.addrsig
	.addrsig_sym __hip_cuid_2ec1ac54232d1c27
	.amdgpu_metadata
---
amdhsa.kernels:
  - .agpr_count:     0
    .args:
      - .actual_access:  read_only
        .address_space:  global
        .offset:         0
        .size:           8
        .value_kind:     global_buffer
      - .offset:         8
        .size:           8
        .value_kind:     by_value
      - .actual_access:  read_only
        .address_space:  global
        .offset:         16
        .size:           8
        .value_kind:     global_buffer
      - .actual_access:  read_only
        .address_space:  global
        .offset:         24
        .size:           8
        .value_kind:     global_buffer
      - .actual_access:  read_only
        .address_space:  global
        .offset:         32
        .size:           8
        .value_kind:     global_buffer
      - .offset:         40
        .size:           8
        .value_kind:     by_value
      - .actual_access:  read_only
        .address_space:  global
        .offset:         48
        .size:           8
        .value_kind:     global_buffer
      - .actual_access:  read_only
        .address_space:  global
        .offset:         56
        .size:           8
        .value_kind:     global_buffer
      - .offset:         64
        .size:           4
        .value_kind:     by_value
      - .actual_access:  read_only
        .address_space:  global
        .offset:         72
        .size:           8
        .value_kind:     global_buffer
      - .actual_access:  read_only
        .address_space:  global
        .offset:         80
        .size:           8
        .value_kind:     global_buffer
      - .actual_access:  read_only
        .address_space:  global
        .offset:         88
        .size:           8
        .value_kind:     global_buffer
      - .actual_access:  write_only
        .address_space:  global
        .offset:         96
        .size:           8
        .value_kind:     global_buffer
    .group_segment_fixed_size: 0
    .kernarg_segment_align: 8
    .kernarg_segment_size: 104
    .language:       OpenCL C
    .language_version:
      - 2
      - 0
    .max_flat_workgroup_size: 64
    .name:           fft_rtc_fwd_len416_factors_13_2_16_wgs_64_tpt_32_dp_op_CI_CI_unitstride_sbrr_dirReg
    .private_segment_fixed_size: 0
    .sgpr_count:     50
    .sgpr_spill_count: 0
    .symbol:         fft_rtc_fwd_len416_factors_13_2_16_wgs_64_tpt_32_dp_op_CI_CI_unitstride_sbrr_dirReg.kd
    .uniform_work_group_size: 1
    .uses_dynamic_stack: false
    .vgpr_count:     128
    .vgpr_spill_count: 0
    .wavefront_size: 64
amdhsa.target:   amdgcn-amd-amdhsa--gfx950
amdhsa.version:
  - 1
  - 2
...

	.end_amdgpu_metadata
